;; amdgpu-corpus repo=zjin-lcf/HeCBench kind=compiled arch=gfx906 opt=O3
	.amdgcn_target "amdgcn-amd-amdhsa--gfx906"
	.amdhsa_code_object_version 6
	.text
	.protected	_Z12gpu_set_zeroiPdS_   ; -- Begin function _Z12gpu_set_zeroiPdS_
	.globl	_Z12gpu_set_zeroiPdS_
	.p2align	8
	.type	_Z12gpu_set_zeroiPdS_,@function
_Z12gpu_set_zeroiPdS_:                  ; @_Z12gpu_set_zeroiPdS_
; %bb.0:
	s_load_dword s0, s[4:5], 0x24
	s_load_dword s1, s[4:5], 0x0
	s_waitcnt lgkmcnt(0)
	s_and_b32 s0, s0, 0xffff
	s_mul_i32 s6, s6, s0
	v_add_u32_e32 v0, s6, v0
	v_cmp_gt_i32_e32 vcc, s1, v0
	s_and_saveexec_b64 s[0:1], vcc
	s_cbranch_execz .LBB0_2
; %bb.1:
	s_load_dwordx4 s[0:3], s[4:5], 0x8
	v_ashrrev_i32_e32 v1, 31, v0
	v_lshlrev_b64 v[0:1], 3, v[0:1]
	s_waitcnt lgkmcnt(0)
	v_mov_b32_e32 v3, s3
	v_add_co_u32_e32 v2, vcc, s2, v0
	v_addc_co_u32_e32 v3, vcc, v3, v1, vcc
	v_add_co_u32_e32 v0, vcc, s0, v0
	s_mov_b32 s0, 0
	v_mov_b32_e32 v4, s1
	s_mov_b32 s1, s0
	v_addc_co_u32_e32 v1, vcc, v4, v1, vcc
	v_mov_b32_e32 v5, s1
	v_mov_b32_e32 v4, s0
	global_store_dwordx2 v[0:1], v[4:5], off
	global_store_dwordx2 v[2:3], v[4:5], off
.LBB0_2:
	s_endpgm
	.section	.rodata,"a",@progbits
	.p2align	6, 0x0
	.amdhsa_kernel _Z12gpu_set_zeroiPdS_
		.amdhsa_group_segment_fixed_size 0
		.amdhsa_private_segment_fixed_size 0
		.amdhsa_kernarg_size 280
		.amdhsa_user_sgpr_count 6
		.amdhsa_user_sgpr_private_segment_buffer 1
		.amdhsa_user_sgpr_dispatch_ptr 0
		.amdhsa_user_sgpr_queue_ptr 0
		.amdhsa_user_sgpr_kernarg_segment_ptr 1
		.amdhsa_user_sgpr_dispatch_id 0
		.amdhsa_user_sgpr_flat_scratch_init 0
		.amdhsa_user_sgpr_private_segment_size 0
		.amdhsa_uses_dynamic_stack 0
		.amdhsa_system_sgpr_private_segment_wavefront_offset 0
		.amdhsa_system_sgpr_workgroup_id_x 1
		.amdhsa_system_sgpr_workgroup_id_y 0
		.amdhsa_system_sgpr_workgroup_id_z 0
		.amdhsa_system_sgpr_workgroup_info 0
		.amdhsa_system_vgpr_workitem_id 0
		.amdhsa_next_free_vgpr 6
		.amdhsa_next_free_sgpr 7
		.amdhsa_reserve_vcc 1
		.amdhsa_reserve_flat_scratch 0
		.amdhsa_float_round_mode_32 0
		.amdhsa_float_round_mode_16_64 0
		.amdhsa_float_denorm_mode_32 3
		.amdhsa_float_denorm_mode_16_64 3
		.amdhsa_dx10_clamp 1
		.amdhsa_ieee_mode 1
		.amdhsa_fp16_overflow 0
		.amdhsa_exception_fp_ieee_invalid_op 0
		.amdhsa_exception_fp_denorm_src 0
		.amdhsa_exception_fp_ieee_div_zero 0
		.amdhsa_exception_fp_ieee_overflow 0
		.amdhsa_exception_fp_ieee_underflow 0
		.amdhsa_exception_fp_ieee_inexact 0
		.amdhsa_exception_int_div_zero 0
	.end_amdhsa_kernel
	.text
.Lfunc_end0:
	.size	_Z12gpu_set_zeroiPdS_, .Lfunc_end0-_Z12gpu_set_zeroiPdS_
                                        ; -- End function
	.set _Z12gpu_set_zeroiPdS_.num_vgpr, 6
	.set _Z12gpu_set_zeroiPdS_.num_agpr, 0
	.set _Z12gpu_set_zeroiPdS_.numbered_sgpr, 7
	.set _Z12gpu_set_zeroiPdS_.num_named_barrier, 0
	.set _Z12gpu_set_zeroiPdS_.private_seg_size, 0
	.set _Z12gpu_set_zeroiPdS_.uses_vcc, 1
	.set _Z12gpu_set_zeroiPdS_.uses_flat_scratch, 0
	.set _Z12gpu_set_zeroiPdS_.has_dyn_sized_stack, 0
	.set _Z12gpu_set_zeroiPdS_.has_recursion, 0
	.set _Z12gpu_set_zeroiPdS_.has_indirect_call, 0
	.section	.AMDGPU.csdata,"",@progbits
; Kernel info:
; codeLenInByte = 132
; TotalNumSgprs: 11
; NumVgprs: 6
; ScratchSize: 0
; MemoryBound: 0
; FloatMode: 240
; IeeeMode: 1
; LDSByteSize: 0 bytes/workgroup (compile time only)
; SGPRBlocks: 1
; VGPRBlocks: 1
; NumSGPRsForWavesPerEU: 11
; NumVGPRsForWavesPerEU: 6
; Occupancy: 10
; WaveLimiterHint : 0
; COMPUTE_PGM_RSRC2:SCRATCH_EN: 0
; COMPUTE_PGM_RSRC2:USER_SGPR: 6
; COMPUTE_PGM_RSRC2:TRAP_HANDLER: 0
; COMPUTE_PGM_RSRC2:TGID_X_EN: 1
; COMPUTE_PGM_RSRC2:TGID_Y_EN: 0
; COMPUTE_PGM_RSRC2:TGID_Z_EN: 0
; COMPUTE_PGM_RSRC2:TIDIG_COMP_CNT: 0
	.text
	.protected	_Z14gpu_copy_stateiPKdS0_PdS1_ ; -- Begin function _Z14gpu_copy_stateiPKdS0_PdS1_
	.globl	_Z14gpu_copy_stateiPKdS0_PdS1_
	.p2align	8
	.type	_Z14gpu_copy_stateiPKdS0_PdS1_,@function
_Z14gpu_copy_stateiPKdS0_PdS1_:         ; @_Z14gpu_copy_stateiPKdS0_PdS1_
; %bb.0:
	s_load_dword s0, s[4:5], 0x34
	s_load_dword s1, s[4:5], 0x0
	s_waitcnt lgkmcnt(0)
	s_and_b32 s0, s0, 0xffff
	s_mul_i32 s6, s6, s0
	v_add_u32_e32 v0, s6, v0
	v_cmp_gt_i32_e32 vcc, s1, v0
	s_and_saveexec_b64 s[0:1], vcc
	s_cbranch_execz .LBB1_2
; %bb.1:
	s_load_dwordx8 s[8:15], s[4:5], 0x8
	v_ashrrev_i32_e32 v1, 31, v0
	v_lshlrev_b64 v[0:1], 3, v[0:1]
	s_waitcnt lgkmcnt(0)
	v_mov_b32_e32 v3, s11
	v_add_co_u32_e32 v2, vcc, s10, v0
	v_addc_co_u32_e32 v3, vcc, v3, v1, vcc
	v_mov_b32_e32 v5, s9
	v_add_co_u32_e32 v4, vcc, s8, v0
	v_addc_co_u32_e32 v5, vcc, v5, v1, vcc
	global_load_dwordx2 v[6:7], v[4:5], off
	global_load_dwordx2 v[8:9], v[2:3], off
	v_mov_b32_e32 v3, s15
	v_add_co_u32_e32 v2, vcc, s14, v0
	v_addc_co_u32_e32 v3, vcc, v3, v1, vcc
	v_mov_b32_e32 v4, s13
	v_add_co_u32_e32 v0, vcc, s12, v0
	v_addc_co_u32_e32 v1, vcc, v4, v1, vcc
	s_waitcnt vmcnt(1)
	global_store_dwordx2 v[0:1], v[6:7], off
	s_waitcnt vmcnt(1)
	global_store_dwordx2 v[2:3], v[8:9], off
.LBB1_2:
	s_endpgm
	.section	.rodata,"a",@progbits
	.p2align	6, 0x0
	.amdhsa_kernel _Z14gpu_copy_stateiPKdS0_PdS1_
		.amdhsa_group_segment_fixed_size 0
		.amdhsa_private_segment_fixed_size 0
		.amdhsa_kernarg_size 296
		.amdhsa_user_sgpr_count 6
		.amdhsa_user_sgpr_private_segment_buffer 1
		.amdhsa_user_sgpr_dispatch_ptr 0
		.amdhsa_user_sgpr_queue_ptr 0
		.amdhsa_user_sgpr_kernarg_segment_ptr 1
		.amdhsa_user_sgpr_dispatch_id 0
		.amdhsa_user_sgpr_flat_scratch_init 0
		.amdhsa_user_sgpr_private_segment_size 0
		.amdhsa_uses_dynamic_stack 0
		.amdhsa_system_sgpr_private_segment_wavefront_offset 0
		.amdhsa_system_sgpr_workgroup_id_x 1
		.amdhsa_system_sgpr_workgroup_id_y 0
		.amdhsa_system_sgpr_workgroup_id_z 0
		.amdhsa_system_sgpr_workgroup_info 0
		.amdhsa_system_vgpr_workitem_id 0
		.amdhsa_next_free_vgpr 10
		.amdhsa_next_free_sgpr 16
		.amdhsa_reserve_vcc 1
		.amdhsa_reserve_flat_scratch 0
		.amdhsa_float_round_mode_32 0
		.amdhsa_float_round_mode_16_64 0
		.amdhsa_float_denorm_mode_32 3
		.amdhsa_float_denorm_mode_16_64 3
		.amdhsa_dx10_clamp 1
		.amdhsa_ieee_mode 1
		.amdhsa_fp16_overflow 0
		.amdhsa_exception_fp_ieee_invalid_op 0
		.amdhsa_exception_fp_denorm_src 0
		.amdhsa_exception_fp_ieee_div_zero 0
		.amdhsa_exception_fp_ieee_overflow 0
		.amdhsa_exception_fp_ieee_underflow 0
		.amdhsa_exception_fp_ieee_inexact 0
		.amdhsa_exception_int_div_zero 0
	.end_amdhsa_kernel
	.text
.Lfunc_end1:
	.size	_Z14gpu_copy_stateiPKdS0_PdS1_, .Lfunc_end1-_Z14gpu_copy_stateiPKdS0_PdS1_
                                        ; -- End function
	.set _Z14gpu_copy_stateiPKdS0_PdS1_.num_vgpr, 10
	.set _Z14gpu_copy_stateiPKdS0_PdS1_.num_agpr, 0
	.set _Z14gpu_copy_stateiPKdS0_PdS1_.numbered_sgpr, 16
	.set _Z14gpu_copy_stateiPKdS0_PdS1_.num_named_barrier, 0
	.set _Z14gpu_copy_stateiPKdS0_PdS1_.private_seg_size, 0
	.set _Z14gpu_copy_stateiPKdS0_PdS1_.uses_vcc, 1
	.set _Z14gpu_copy_stateiPKdS0_PdS1_.uses_flat_scratch, 0
	.set _Z14gpu_copy_stateiPKdS0_PdS1_.has_dyn_sized_stack, 0
	.set _Z14gpu_copy_stateiPKdS0_PdS1_.has_recursion, 0
	.set _Z14gpu_copy_stateiPKdS0_PdS1_.has_indirect_call, 0
	.section	.AMDGPU.csdata,"",@progbits
; Kernel info:
; codeLenInByte = 164
; TotalNumSgprs: 20
; NumVgprs: 10
; ScratchSize: 0
; MemoryBound: 0
; FloatMode: 240
; IeeeMode: 1
; LDSByteSize: 0 bytes/workgroup (compile time only)
; SGPRBlocks: 2
; VGPRBlocks: 2
; NumSGPRsForWavesPerEU: 20
; NumVGPRsForWavesPerEU: 10
; Occupancy: 10
; WaveLimiterHint : 0
; COMPUTE_PGM_RSRC2:SCRATCH_EN: 0
; COMPUTE_PGM_RSRC2:USER_SGPR: 6
; COMPUTE_PGM_RSRC2:TRAP_HANDLER: 0
; COMPUTE_PGM_RSRC2:TGID_X_EN: 1
; COMPUTE_PGM_RSRC2:TGID_Y_EN: 0
; COMPUTE_PGM_RSRC2:TGID_Z_EN: 0
; COMPUTE_PGM_RSRC2:TIDIG_COMP_CNT: 0
	.text
	.protected	_Z13gpu_add_stateiPKdS0_PdS1_ ; -- Begin function _Z13gpu_add_stateiPKdS0_PdS1_
	.globl	_Z13gpu_add_stateiPKdS0_PdS1_
	.p2align	8
	.type	_Z13gpu_add_stateiPKdS0_PdS1_,@function
_Z13gpu_add_stateiPKdS0_PdS1_:          ; @_Z13gpu_add_stateiPKdS0_PdS1_
; %bb.0:
	s_load_dword s0, s[4:5], 0x34
	s_load_dword s1, s[4:5], 0x0
	s_waitcnt lgkmcnt(0)
	s_and_b32 s0, s0, 0xffff
	s_mul_i32 s6, s6, s0
	v_add_u32_e32 v0, s6, v0
	v_cmp_gt_i32_e32 vcc, s1, v0
	s_and_saveexec_b64 s[0:1], vcc
	s_cbranch_execz .LBB2_2
; %bb.1:
	s_load_dwordx8 s[8:15], s[4:5], 0x8
	v_ashrrev_i32_e32 v1, 31, v0
	v_lshlrev_b64 v[0:1], 3, v[0:1]
	s_waitcnt lgkmcnt(0)
	v_mov_b32_e32 v3, s9
	v_add_co_u32_e32 v2, vcc, s8, v0
	v_addc_co_u32_e32 v3, vcc, v3, v1, vcc
	v_mov_b32_e32 v5, s13
	v_add_co_u32_e32 v4, vcc, s12, v0
	v_addc_co_u32_e32 v5, vcc, v5, v1, vcc
	;; [unrolled: 3-line block ×3, first 2 shown]
	v_mov_b32_e32 v10, s15
	v_add_co_u32_e32 v0, vcc, s14, v0
	global_load_dwordx2 v[2:3], v[2:3], off
	v_addc_co_u32_e32 v1, vcc, v10, v1, vcc
	global_load_dwordx2 v[6:7], v[4:5], off
	global_load_dwordx2 v[10:11], v[0:1], off
	s_waitcnt vmcnt(1)
	v_add_f64 v[2:3], v[2:3], v[6:7]
	global_load_dwordx2 v[8:9], v[8:9], off
	s_waitcnt vmcnt(0)
	v_add_f64 v[6:7], v[8:9], v[10:11]
	global_store_dwordx2 v[4:5], v[2:3], off
	global_store_dwordx2 v[0:1], v[6:7], off
.LBB2_2:
	s_endpgm
	.section	.rodata,"a",@progbits
	.p2align	6, 0x0
	.amdhsa_kernel _Z13gpu_add_stateiPKdS0_PdS1_
		.amdhsa_group_segment_fixed_size 0
		.amdhsa_private_segment_fixed_size 0
		.amdhsa_kernarg_size 296
		.amdhsa_user_sgpr_count 6
		.amdhsa_user_sgpr_private_segment_buffer 1
		.amdhsa_user_sgpr_dispatch_ptr 0
		.amdhsa_user_sgpr_queue_ptr 0
		.amdhsa_user_sgpr_kernarg_segment_ptr 1
		.amdhsa_user_sgpr_dispatch_id 0
		.amdhsa_user_sgpr_flat_scratch_init 0
		.amdhsa_user_sgpr_private_segment_size 0
		.amdhsa_uses_dynamic_stack 0
		.amdhsa_system_sgpr_private_segment_wavefront_offset 0
		.amdhsa_system_sgpr_workgroup_id_x 1
		.amdhsa_system_sgpr_workgroup_id_y 0
		.amdhsa_system_sgpr_workgroup_id_z 0
		.amdhsa_system_sgpr_workgroup_info 0
		.amdhsa_system_vgpr_workitem_id 0
		.amdhsa_next_free_vgpr 12
		.amdhsa_next_free_sgpr 16
		.amdhsa_reserve_vcc 1
		.amdhsa_reserve_flat_scratch 0
		.amdhsa_float_round_mode_32 0
		.amdhsa_float_round_mode_16_64 0
		.amdhsa_float_denorm_mode_32 3
		.amdhsa_float_denorm_mode_16_64 3
		.amdhsa_dx10_clamp 1
		.amdhsa_ieee_mode 1
		.amdhsa_fp16_overflow 0
		.amdhsa_exception_fp_ieee_invalid_op 0
		.amdhsa_exception_fp_denorm_src 0
		.amdhsa_exception_fp_ieee_div_zero 0
		.amdhsa_exception_fp_ieee_overflow 0
		.amdhsa_exception_fp_ieee_underflow 0
		.amdhsa_exception_fp_ieee_inexact 0
		.amdhsa_exception_int_div_zero 0
	.end_amdhsa_kernel
	.text
.Lfunc_end2:
	.size	_Z13gpu_add_stateiPKdS0_PdS1_, .Lfunc_end2-_Z13gpu_add_stateiPKdS0_PdS1_
                                        ; -- End function
	.set _Z13gpu_add_stateiPKdS0_PdS1_.num_vgpr, 12
	.set _Z13gpu_add_stateiPKdS0_PdS1_.num_agpr, 0
	.set _Z13gpu_add_stateiPKdS0_PdS1_.numbered_sgpr, 16
	.set _Z13gpu_add_stateiPKdS0_PdS1_.num_named_barrier, 0
	.set _Z13gpu_add_stateiPKdS0_PdS1_.private_seg_size, 0
	.set _Z13gpu_add_stateiPKdS0_PdS1_.uses_vcc, 1
	.set _Z13gpu_add_stateiPKdS0_PdS1_.uses_flat_scratch, 0
	.set _Z13gpu_add_stateiPKdS0_PdS1_.has_dyn_sized_stack, 0
	.set _Z13gpu_add_stateiPKdS0_PdS1_.has_recursion, 0
	.set _Z13gpu_add_stateiPKdS0_PdS1_.has_indirect_call, 0
	.section	.AMDGPU.csdata,"",@progbits
; Kernel info:
; codeLenInByte = 196
; TotalNumSgprs: 20
; NumVgprs: 12
; ScratchSize: 0
; MemoryBound: 1
; FloatMode: 240
; IeeeMode: 1
; LDSByteSize: 0 bytes/workgroup (compile time only)
; SGPRBlocks: 2
; VGPRBlocks: 2
; NumSGPRsForWavesPerEU: 20
; NumVGPRsForWavesPerEU: 12
; Occupancy: 10
; WaveLimiterHint : 0
; COMPUTE_PGM_RSRC2:SCRATCH_EN: 0
; COMPUTE_PGM_RSRC2:USER_SGPR: 6
; COMPUTE_PGM_RSRC2:TRAP_HANDLER: 0
; COMPUTE_PGM_RSRC2:TGID_X_EN: 1
; COMPUTE_PGM_RSRC2:TGID_Y_EN: 0
; COMPUTE_PGM_RSRC2:TGID_Z_EN: 0
; COMPUTE_PGM_RSRC2:TIDIG_COMP_CNT: 0
	.text
	.protected	_Z12gpu_apply_sziPKdS0_PdS1_ ; -- Begin function _Z12gpu_apply_sziPKdS0_PdS1_
	.globl	_Z12gpu_apply_sziPKdS0_PdS1_
	.p2align	8
	.type	_Z12gpu_apply_sziPKdS0_PdS1_,@function
_Z12gpu_apply_sziPKdS0_PdS1_:           ; @_Z12gpu_apply_sziPKdS0_PdS1_
; %bb.0:
	s_load_dword s0, s[4:5], 0x34
	s_load_dword s1, s[4:5], 0x0
	s_waitcnt lgkmcnt(0)
	s_and_b32 s0, s0, 0xffff
	s_mul_i32 s6, s6, s0
	v_add_u32_e32 v4, s6, v0
	v_cmp_gt_i32_e32 vcc, s1, v4
	s_and_saveexec_b64 s[0:1], vcc
	s_cbranch_execz .LBB3_6
; %bb.1:
	s_load_dwordx8 s[8:15], s[4:5], 0x8
	v_ashrrev_i32_e32 v5, 31, v4
	v_lshlrev_b64 v[0:1], 3, v[4:5]
	v_and_b32_e32 v4, 1, v4
	s_waitcnt lgkmcnt(0)
	v_mov_b32_e32 v3, s9
	v_add_co_u32_e32 v2, vcc, s8, v0
	v_addc_co_u32_e32 v3, vcc, v3, v1, vcc
	global_load_dwordx2 v[2:3], v[2:3], off
	v_cmp_eq_u32_e32 vcc, 1, v4
                                        ; implicit-def: $vgpr4_vgpr5
	s_and_saveexec_b64 s[0:1], vcc
	s_xor_b64 s[0:1], exec, s[0:1]
	s_cbranch_execz .LBB3_3
; %bb.2:
	v_mov_b32_e32 v5, s11
	v_add_co_u32_e32 v4, vcc, s10, v0
	v_addc_co_u32_e32 v5, vcc, v5, v1, vcc
	global_load_dwordx2 v[4:5], v[4:5], off
	v_mov_b32_e32 v7, s13
	v_add_co_u32_e32 v6, vcc, s12, v0
	s_waitcnt vmcnt(1)
	v_xor_b32_e32 v3, 0x80000000, v3
	v_addc_co_u32_e32 v7, vcc, v7, v1, vcc
	global_store_dwordx2 v[6:7], v[2:3], off
                                        ; implicit-def: $vgpr2_vgpr3
	s_waitcnt vmcnt(1)
	v_xor_b32_e32 v5, 0x80000000, v5
.LBB3_3:
	s_andn2_saveexec_b64 s[0:1], s[0:1]
	s_cbranch_execz .LBB3_5
; %bb.4:
	v_mov_b32_e32 v5, s11
	v_add_co_u32_e32 v4, vcc, s10, v0
	v_addc_co_u32_e32 v5, vcc, v5, v1, vcc
	global_load_dwordx2 v[4:5], v[4:5], off
	v_mov_b32_e32 v7, s13
	v_add_co_u32_e32 v6, vcc, s12, v0
	v_addc_co_u32_e32 v7, vcc, v7, v1, vcc
	s_waitcnt vmcnt(1)
	global_store_dwordx2 v[6:7], v[2:3], off
.LBB3_5:
	s_or_b64 exec, exec, s[0:1]
	s_waitcnt vmcnt(0)
	v_mov_b32_e32 v2, s15
	v_add_co_u32_e32 v0, vcc, s14, v0
	v_addc_co_u32_e32 v1, vcc, v2, v1, vcc
	global_store_dwordx2 v[0:1], v[4:5], off
.LBB3_6:
	s_endpgm
	.section	.rodata,"a",@progbits
	.p2align	6, 0x0
	.amdhsa_kernel _Z12gpu_apply_sziPKdS0_PdS1_
		.amdhsa_group_segment_fixed_size 0
		.amdhsa_private_segment_fixed_size 0
		.amdhsa_kernarg_size 296
		.amdhsa_user_sgpr_count 6
		.amdhsa_user_sgpr_private_segment_buffer 1
		.amdhsa_user_sgpr_dispatch_ptr 0
		.amdhsa_user_sgpr_queue_ptr 0
		.amdhsa_user_sgpr_kernarg_segment_ptr 1
		.amdhsa_user_sgpr_dispatch_id 0
		.amdhsa_user_sgpr_flat_scratch_init 0
		.amdhsa_user_sgpr_private_segment_size 0
		.amdhsa_uses_dynamic_stack 0
		.amdhsa_system_sgpr_private_segment_wavefront_offset 0
		.amdhsa_system_sgpr_workgroup_id_x 1
		.amdhsa_system_sgpr_workgroup_id_y 0
		.amdhsa_system_sgpr_workgroup_id_z 0
		.amdhsa_system_sgpr_workgroup_info 0
		.amdhsa_system_vgpr_workitem_id 0
		.amdhsa_next_free_vgpr 8
		.amdhsa_next_free_sgpr 16
		.amdhsa_reserve_vcc 1
		.amdhsa_reserve_flat_scratch 0
		.amdhsa_float_round_mode_32 0
		.amdhsa_float_round_mode_16_64 0
		.amdhsa_float_denorm_mode_32 3
		.amdhsa_float_denorm_mode_16_64 3
		.amdhsa_dx10_clamp 1
		.amdhsa_ieee_mode 1
		.amdhsa_fp16_overflow 0
		.amdhsa_exception_fp_ieee_invalid_op 0
		.amdhsa_exception_fp_denorm_src 0
		.amdhsa_exception_fp_ieee_div_zero 0
		.amdhsa_exception_fp_ieee_overflow 0
		.amdhsa_exception_fp_ieee_underflow 0
		.amdhsa_exception_fp_ieee_inexact 0
		.amdhsa_exception_int_div_zero 0
	.end_amdhsa_kernel
	.text
.Lfunc_end3:
	.size	_Z12gpu_apply_sziPKdS0_PdS1_, .Lfunc_end3-_Z12gpu_apply_sziPKdS0_PdS1_
                                        ; -- End function
	.set _Z12gpu_apply_sziPKdS0_PdS1_.num_vgpr, 8
	.set _Z12gpu_apply_sziPKdS0_PdS1_.num_agpr, 0
	.set _Z12gpu_apply_sziPKdS0_PdS1_.numbered_sgpr, 16
	.set _Z12gpu_apply_sziPKdS0_PdS1_.num_named_barrier, 0
	.set _Z12gpu_apply_sziPKdS0_PdS1_.private_seg_size, 0
	.set _Z12gpu_apply_sziPKdS0_PdS1_.uses_vcc, 1
	.set _Z12gpu_apply_sziPKdS0_PdS1_.uses_flat_scratch, 0
	.set _Z12gpu_apply_sziPKdS0_PdS1_.has_dyn_sized_stack, 0
	.set _Z12gpu_apply_sziPKdS0_PdS1_.has_recursion, 0
	.set _Z12gpu_apply_sziPKdS0_PdS1_.has_indirect_call, 0
	.section	.AMDGPU.csdata,"",@progbits
; Kernel info:
; codeLenInByte = 260
; TotalNumSgprs: 20
; NumVgprs: 8
; ScratchSize: 0
; MemoryBound: 0
; FloatMode: 240
; IeeeMode: 1
; LDSByteSize: 0 bytes/workgroup (compile time only)
; SGPRBlocks: 2
; VGPRBlocks: 1
; NumSGPRsForWavesPerEU: 20
; NumVGPRsForWavesPerEU: 8
; Occupancy: 10
; WaveLimiterHint : 0
; COMPUTE_PGM_RSRC2:SCRATCH_EN: 0
; COMPUTE_PGM_RSRC2:USER_SGPR: 6
; COMPUTE_PGM_RSRC2:TRAP_HANDLER: 0
; COMPUTE_PGM_RSRC2:TGID_X_EN: 1
; COMPUTE_PGM_RSRC2:TGID_Y_EN: 0
; COMPUTE_PGM_RSRC2:TGID_Z_EN: 0
; COMPUTE_PGM_RSRC2:TIDIG_COMP_CNT: 0
	.text
	.protected	_Z24gpu_find_inner_product_1iPKdS0_S0_S0_PdS1_i ; -- Begin function _Z24gpu_find_inner_product_1iPKdS0_S0_S0_PdS1_i
	.globl	_Z24gpu_find_inner_product_1iPKdS0_S0_S0_PdS1_i
	.p2align	8
	.type	_Z24gpu_find_inner_product_1iPKdS0_S0_S0_PdS1_i,@function
_Z24gpu_find_inner_product_1iPKdS0_S0_S0_PdS1_i: ; @_Z24gpu_find_inner_product_1iPKdS0_S0_S0_PdS1_i
; %bb.0:
	s_load_dword s0, s[4:5], 0x4c
	s_load_dword s2, s[4:5], 0x0
	v_lshlrev_b32_e32 v1, 3, v0
	v_add_u32_e32 v3, 0x800, v1
	s_waitcnt lgkmcnt(0)
	s_and_b32 s0, s0, 0xffff
	s_mul_i32 s0, s6, s0
	v_add_u32_e32 v4, s0, v0
	s_mov_b32 s0, 0
	s_mov_b32 s1, s0
	v_mov_b32_e32 v6, s1
	v_mov_b32_e32 v5, s0
	v_cmp_gt_i32_e32 vcc, s2, v4
	ds_write2st64_b64 v1, v[5:6], v[5:6] offset1:4
	s_and_saveexec_b64 s[0:1], vcc
	s_cbranch_execz .LBB4_2
; %bb.1:
	s_load_dwordx8 s[8:15], s[4:5], 0x8
	v_ashrrev_i32_e32 v5, 31, v4
	v_lshlrev_b64 v[4:5], 3, v[4:5]
	s_waitcnt lgkmcnt(0)
	v_mov_b32_e32 v2, s9
	v_add_co_u32_e32 v6, vcc, s8, v4
	v_addc_co_u32_e32 v7, vcc, v2, v5, vcc
	v_mov_b32_e32 v2, s11
	v_add_co_u32_e32 v8, vcc, s10, v4
	v_addc_co_u32_e32 v9, vcc, v2, v5, vcc
	v_mov_b32_e32 v2, s15
	v_add_co_u32_e32 v10, vcc, s14, v4
	global_load_dwordx2 v[8:9], v[8:9], off
	v_addc_co_u32_e32 v11, vcc, v2, v5, vcc
	global_load_dwordx2 v[12:13], v[10:11], off
	global_load_dwordx2 v[14:15], v[6:7], off
	v_mov_b32_e32 v2, s13
	v_add_co_u32_e32 v4, vcc, s12, v4
	v_addc_co_u32_e32 v5, vcc, v2, v5, vcc
	global_load_dwordx2 v[4:5], v[4:5], off
	s_waitcnt vmcnt(2)
	v_mul_f64 v[6:7], v[8:9], v[12:13]
	s_waitcnt vmcnt(1)
	v_mul_f64 v[10:11], v[14:15], v[12:13]
	s_waitcnt vmcnt(0)
	v_fma_f64 v[6:7], v[14:15], v[4:5], v[6:7]
	v_fma_f64 v[4:5], v[8:9], v[4:5], -v[10:11]
	ds_write_b64 v3, v[6:7]
	ds_write_b64 v1, v[4:5]
.LBB4_2:
	s_or_b64 exec, exec, s[0:1]
	s_movk_i32 s0, 0x80
	v_cmp_gt_u32_e32 vcc, s0, v0
	s_waitcnt lgkmcnt(0)
	s_barrier
	s_and_saveexec_b64 s[0:1], vcc
	s_cbranch_execz .LBB4_4
; %bb.3:
	ds_read2st64_b64 v[4:7], v3 offset1:2
	ds_read2st64_b64 v[8:11], v1 offset1:2
	s_waitcnt lgkmcnt(1)
	v_add_f64 v[4:5], v[6:7], v[4:5]
	s_waitcnt lgkmcnt(0)
	v_add_f64 v[6:7], v[10:11], v[8:9]
	ds_write_b64 v3, v[4:5]
	ds_write_b64 v1, v[6:7]
.LBB4_4:
	s_or_b64 exec, exec, s[0:1]
	v_cmp_gt_u32_e32 vcc, 64, v0
	s_waitcnt lgkmcnt(0)
	s_barrier
	s_and_saveexec_b64 s[0:1], vcc
	s_cbranch_execz .LBB4_6
; %bb.5:
	ds_read2st64_b64 v[4:7], v3 offset1:1
	ds_read2st64_b64 v[8:11], v1 offset1:1
	s_waitcnt lgkmcnt(1)
	v_add_f64 v[4:5], v[6:7], v[4:5]
	s_waitcnt lgkmcnt(0)
	v_add_f64 v[6:7], v[10:11], v[8:9]
	ds_write_b64 v3, v[4:5]
	ds_write_b64 v1, v[6:7]
.LBB4_6:
	s_or_b64 exec, exec, s[0:1]
	v_cmp_gt_u32_e32 vcc, 32, v0
	s_waitcnt lgkmcnt(0)
	s_barrier
	s_and_saveexec_b64 s[0:1], vcc
	s_cbranch_execz .LBB4_8
; %bb.7:
	s_mov_b64 s[2:3], src_shared_base
	v_add_u32_e32 v5, 0x100, v3
	v_mov_b32_e32 v6, s3
	v_mov_b32_e32 v4, s3
	flat_load_dwordx2 v[7:8], v[5:6] glc
	s_waitcnt vmcnt(0)
	flat_load_dwordx2 v[9:10], v[3:4] glc
	s_waitcnt vmcnt(0)
	v_mov_b32_e32 v2, s3
	s_waitcnt lgkmcnt(0)
	v_add_f64 v[5:6], v[7:8], v[9:10]
	v_add_u32_e32 v7, 0x80, v3
	v_mov_b32_e32 v8, s3
	flat_store_dwordx2 v[3:4], v[5:6]
	s_waitcnt vmcnt(0)
	flat_load_dwordx2 v[5:6], v[7:8] glc
	s_waitcnt vmcnt(0)
	flat_load_dwordx2 v[9:10], v[3:4] glc
	s_waitcnt vmcnt(0)
	v_add_u32_e32 v7, 64, v3
	s_waitcnt lgkmcnt(0)
	v_add_f64 v[5:6], v[5:6], v[9:10]
	flat_store_dwordx2 v[3:4], v[5:6]
	s_waitcnt vmcnt(0)
	flat_load_dwordx2 v[5:6], v[7:8] glc
	s_waitcnt vmcnt(0)
	flat_load_dwordx2 v[9:10], v[3:4] glc
	s_waitcnt vmcnt(0)
	v_add_u32_e32 v7, 32, v3
	s_waitcnt lgkmcnt(0)
	v_add_f64 v[5:6], v[5:6], v[9:10]
	;; [unrolled: 9-line block ×4, first 2 shown]
	flat_store_dwordx2 v[3:4], v[5:6]
	s_waitcnt vmcnt(0)
	flat_load_dwordx2 v[5:6], v[7:8] glc
	s_waitcnt vmcnt(0)
	flat_load_dwordx2 v[9:10], v[3:4] glc
	s_waitcnt vmcnt(0) lgkmcnt(0)
	v_add_f64 v[5:6], v[5:6], v[9:10]
	flat_store_dwordx2 v[3:4], v[5:6]
	s_waitcnt vmcnt(0)
	v_add_u32_e32 v3, 0x100, v1
	flat_load_dwordx2 v[5:6], v[3:4] glc
	s_waitcnt vmcnt(0)
	flat_load_dwordx2 v[7:8], v[1:2] glc
	s_waitcnt vmcnt(0)
	v_add_u32_e32 v3, 0x80, v1
	s_waitcnt lgkmcnt(0)
	v_add_f64 v[5:6], v[5:6], v[7:8]
	flat_store_dwordx2 v[1:2], v[5:6]
	s_waitcnt vmcnt(0)
	flat_load_dwordx2 v[5:6], v[3:4] glc
	s_waitcnt vmcnt(0)
	flat_load_dwordx2 v[7:8], v[1:2] glc
	s_waitcnt vmcnt(0)
	v_add_u32_e32 v3, 64, v1
	s_waitcnt lgkmcnt(0)
	v_add_f64 v[5:6], v[5:6], v[7:8]
	flat_store_dwordx2 v[1:2], v[5:6]
	s_waitcnt vmcnt(0)
	;; [unrolled: 9-line block ×5, first 2 shown]
	flat_load_dwordx2 v[5:6], v[3:4] glc
	s_waitcnt vmcnt(0)
	flat_load_dwordx2 v[7:8], v[1:2] glc
	s_waitcnt vmcnt(0) lgkmcnt(0)
	v_add_f64 v[3:4], v[5:6], v[7:8]
	flat_store_dwordx2 v[1:2], v[3:4]
	s_waitcnt vmcnt(0)
.LBB4_8:
	s_or_b64 exec, exec, s[0:1]
	s_mov_b32 s1, 0
	v_cmp_eq_u32_e32 vcc, 0, v0
	s_and_saveexec_b64 s[2:3], vcc
	s_cbranch_execz .LBB4_10
; %bb.9:
	s_load_dword s0, s[4:5], 0x38
	s_load_dwordx4 s[8:11], s[4:5], 0x28
	v_mov_b32_e32 v4, 0
	ds_read2st64_b64 v[0:3], v4 offset1:4
	s_waitcnt lgkmcnt(0)
	s_add_i32 s0, s0, s6
	s_lshl_b64 s[0:1], s[0:1], 3
	s_add_u32 s2, s10, s0
	s_addc_u32 s3, s11, s1
	s_add_u32 s0, s8, s0
	s_addc_u32 s1, s9, s1
	global_store_dwordx2 v4, v[2:3], s[0:1]
	global_store_dwordx2 v4, v[0:1], s[2:3]
.LBB4_10:
	s_endpgm
	.section	.rodata,"a",@progbits
	.p2align	6, 0x0
	.amdhsa_kernel _Z24gpu_find_inner_product_1iPKdS0_S0_S0_PdS1_i
		.amdhsa_group_segment_fixed_size 4096
		.amdhsa_private_segment_fixed_size 0
		.amdhsa_kernarg_size 320
		.amdhsa_user_sgpr_count 6
		.amdhsa_user_sgpr_private_segment_buffer 1
		.amdhsa_user_sgpr_dispatch_ptr 0
		.amdhsa_user_sgpr_queue_ptr 0
		.amdhsa_user_sgpr_kernarg_segment_ptr 1
		.amdhsa_user_sgpr_dispatch_id 0
		.amdhsa_user_sgpr_flat_scratch_init 0
		.amdhsa_user_sgpr_private_segment_size 0
		.amdhsa_uses_dynamic_stack 0
		.amdhsa_system_sgpr_private_segment_wavefront_offset 0
		.amdhsa_system_sgpr_workgroup_id_x 1
		.amdhsa_system_sgpr_workgroup_id_y 0
		.amdhsa_system_sgpr_workgroup_id_z 0
		.amdhsa_system_sgpr_workgroup_info 0
		.amdhsa_system_vgpr_workitem_id 0
		.amdhsa_next_free_vgpr 29
		.amdhsa_next_free_sgpr 61
		.amdhsa_reserve_vcc 1
		.amdhsa_reserve_flat_scratch 0
		.amdhsa_float_round_mode_32 0
		.amdhsa_float_round_mode_16_64 0
		.amdhsa_float_denorm_mode_32 3
		.amdhsa_float_denorm_mode_16_64 3
		.amdhsa_dx10_clamp 1
		.amdhsa_ieee_mode 1
		.amdhsa_fp16_overflow 0
		.amdhsa_exception_fp_ieee_invalid_op 0
		.amdhsa_exception_fp_denorm_src 0
		.amdhsa_exception_fp_ieee_div_zero 0
		.amdhsa_exception_fp_ieee_overflow 0
		.amdhsa_exception_fp_ieee_underflow 0
		.amdhsa_exception_fp_ieee_inexact 0
		.amdhsa_exception_int_div_zero 0
	.end_amdhsa_kernel
	.text
.Lfunc_end4:
	.size	_Z24gpu_find_inner_product_1iPKdS0_S0_S0_PdS1_i, .Lfunc_end4-_Z24gpu_find_inner_product_1iPKdS0_S0_S0_PdS1_i
                                        ; -- End function
	.set _Z24gpu_find_inner_product_1iPKdS0_S0_S0_PdS1_i.num_vgpr, 16
	.set _Z24gpu_find_inner_product_1iPKdS0_S0_S0_PdS1_i.num_agpr, 0
	.set _Z24gpu_find_inner_product_1iPKdS0_S0_S0_PdS1_i.numbered_sgpr, 16
	.set _Z24gpu_find_inner_product_1iPKdS0_S0_S0_PdS1_i.num_named_barrier, 0
	.set _Z24gpu_find_inner_product_1iPKdS0_S0_S0_PdS1_i.private_seg_size, 0
	.set _Z24gpu_find_inner_product_1iPKdS0_S0_S0_PdS1_i.uses_vcc, 1
	.set _Z24gpu_find_inner_product_1iPKdS0_S0_S0_PdS1_i.uses_flat_scratch, 0
	.set _Z24gpu_find_inner_product_1iPKdS0_S0_S0_PdS1_i.has_dyn_sized_stack, 0
	.set _Z24gpu_find_inner_product_1iPKdS0_S0_S0_PdS1_i.has_recursion, 0
	.set _Z24gpu_find_inner_product_1iPKdS0_S0_S0_PdS1_i.has_indirect_call, 0
	.section	.AMDGPU.csdata,"",@progbits
; Kernel info:
; codeLenInByte = 1184
; TotalNumSgprs: 20
; NumVgprs: 16
; ScratchSize: 0
; MemoryBound: 1
; FloatMode: 240
; IeeeMode: 1
; LDSByteSize: 4096 bytes/workgroup (compile time only)
; SGPRBlocks: 8
; VGPRBlocks: 7
; NumSGPRsForWavesPerEU: 65
; NumVGPRsForWavesPerEU: 29
; Occupancy: 8
; WaveLimiterHint : 1
; COMPUTE_PGM_RSRC2:SCRATCH_EN: 0
; COMPUTE_PGM_RSRC2:USER_SGPR: 6
; COMPUTE_PGM_RSRC2:TRAP_HANDLER: 0
; COMPUTE_PGM_RSRC2:TGID_X_EN: 1
; COMPUTE_PGM_RSRC2:TGID_Y_EN: 0
; COMPUTE_PGM_RSRC2:TGID_Z_EN: 0
; COMPUTE_PGM_RSRC2:TIDIG_COMP_CNT: 0
	.text
	.protected	_Z24gpu_find_inner_product_2iPKdS0_PdS1_ ; -- Begin function _Z24gpu_find_inner_product_2iPKdS0_PdS1_
	.globl	_Z24gpu_find_inner_product_2iPKdS0_PdS1_
	.p2align	8
	.type	_Z24gpu_find_inner_product_2iPKdS0_PdS1_,@function
_Z24gpu_find_inner_product_2iPKdS0_PdS1_: ; @_Z24gpu_find_inner_product_2iPKdS0_PdS1_
; %bb.0:
	s_load_dword s7, s[4:5], 0x0
	s_mov_b32 s0, 0
	s_mov_b32 s1, s0
	v_lshlrev_b32_e32 v1, 3, v0
	v_mov_b32_e32 v5, s1
	v_add_u32_e32 v3, 0x800, v1
	v_mov_b32_e32 v4, s0
	s_waitcnt lgkmcnt(0)
	s_cmp_lt_i32 s7, 0xffff0002
	ds_write2st64_b64 v1, v[4:5], v[4:5] offset1:4
	s_cbranch_scc1 .LBB5_5
; %bb.1:
	s_add_i32 s8, s7, -1
	s_ashr_i32 s9, s8, 31
	s_load_dwordx4 s[0:3], s[4:5], 0x8
	s_lshr_b32 s7, s9, 24
	s_add_i32 s7, s8, s7
	s_lshr_b32 s9, s9, 16
	s_ashr_i32 s7, s7, 8
	s_add_i32 s8, s8, s9
	s_ashr_i32 s8, s8, 16
	s_add_i32 s10, s7, 1
	v_mov_b32_e32 v4, 0
	v_mov_b32_e32 v6, 0
	s_mul_i32 s10, s10, s6
	s_add_i32 s11, s8, 1
	v_mov_b32_e32 v5, 0
	v_mov_b32_e32 v7, 0
	;; [unrolled: 1-line block ×3, first 2 shown]
	s_branch .LBB5_3
.LBB5_2:                                ;   in Loop: Header=BB5_3 Depth=1
	s_or_b64 exec, exec, s[8:9]
	s_add_i32 s11, s11, -1
	s_cmp_lg_u32 s11, 0
	v_add_u32_e32 v2, 0x100, v2
	s_cbranch_scc0 .LBB5_5
.LBB5_3:                                ; =>This Inner Loop Header: Depth=1
	v_cmp_ge_i32_e32 vcc, s7, v2
	s_and_saveexec_b64 s[8:9], vcc
	s_cbranch_execz .LBB5_2
; %bb.4:                                ;   in Loop: Header=BB5_3 Depth=1
	v_add_u32_e32 v8, s10, v2
	v_ashrrev_i32_e32 v9, 31, v8
	v_lshlrev_b64 v[8:9], 3, v[8:9]
	s_waitcnt lgkmcnt(0)
	v_mov_b32_e32 v11, s1
	v_add_co_u32_e32 v10, vcc, s0, v8
	v_addc_co_u32_e32 v11, vcc, v11, v9, vcc
	v_mov_b32_e32 v12, s3
	v_add_co_u32_e32 v8, vcc, s2, v8
	v_addc_co_u32_e32 v9, vcc, v12, v9, vcc
	global_load_dwordx2 v[10:11], v[10:11], off
	s_waitcnt vmcnt(0)
	v_add_f64 v[6:7], v[10:11], v[6:7]
	global_load_dwordx2 v[8:9], v[8:9], off
	s_waitcnt vmcnt(0)
	v_add_f64 v[4:5], v[8:9], v[4:5]
	ds_write_b64 v3, v[6:7]
	ds_write_b64 v1, v[4:5]
	s_branch .LBB5_2
.LBB5_5:
	s_waitcnt lgkmcnt(0)
	s_movk_i32 s0, 0x80
	v_cmp_gt_u32_e32 vcc, s0, v0
	s_barrier
	s_and_saveexec_b64 s[0:1], vcc
	s_cbranch_execz .LBB5_7
; %bb.6:
	ds_read2st64_b64 v[4:7], v3 offset1:2
	ds_read2st64_b64 v[8:11], v1 offset1:2
	s_waitcnt lgkmcnt(1)
	v_add_f64 v[4:5], v[6:7], v[4:5]
	s_waitcnt lgkmcnt(0)
	v_add_f64 v[6:7], v[10:11], v[8:9]
	ds_write_b64 v3, v[4:5]
	ds_write_b64 v1, v[6:7]
.LBB5_7:
	s_or_b64 exec, exec, s[0:1]
	v_cmp_gt_u32_e32 vcc, 64, v0
	s_waitcnt lgkmcnt(0)
	s_barrier
	s_and_saveexec_b64 s[0:1], vcc
	s_cbranch_execz .LBB5_9
; %bb.8:
	ds_read2st64_b64 v[4:7], v3 offset1:1
	ds_read2st64_b64 v[8:11], v1 offset1:1
	s_waitcnt lgkmcnt(1)
	v_add_f64 v[4:5], v[6:7], v[4:5]
	s_waitcnt lgkmcnt(0)
	v_add_f64 v[6:7], v[10:11], v[8:9]
	ds_write_b64 v3, v[4:5]
	ds_write_b64 v1, v[6:7]
.LBB5_9:
	s_or_b64 exec, exec, s[0:1]
	v_cmp_gt_u32_e32 vcc, 32, v0
	s_waitcnt lgkmcnt(0)
	s_barrier
	s_and_saveexec_b64 s[0:1], vcc
	s_cbranch_execz .LBB5_11
; %bb.10:
	s_mov_b64 s[2:3], src_shared_base
	v_add_u32_e32 v5, 0x100, v3
	v_mov_b32_e32 v6, s3
	v_mov_b32_e32 v4, s3
	flat_load_dwordx2 v[7:8], v[5:6] glc
	s_waitcnt vmcnt(0)
	flat_load_dwordx2 v[9:10], v[3:4] glc
	s_waitcnt vmcnt(0)
	v_mov_b32_e32 v2, s3
	s_waitcnt lgkmcnt(0)
	v_add_f64 v[5:6], v[7:8], v[9:10]
	v_add_u32_e32 v7, 0x80, v3
	v_mov_b32_e32 v8, s3
	flat_store_dwordx2 v[3:4], v[5:6]
	s_waitcnt vmcnt(0)
	flat_load_dwordx2 v[5:6], v[7:8] glc
	s_waitcnt vmcnt(0)
	flat_load_dwordx2 v[9:10], v[3:4] glc
	s_waitcnt vmcnt(0)
	v_add_u32_e32 v7, 64, v3
	s_waitcnt lgkmcnt(0)
	v_add_f64 v[5:6], v[5:6], v[9:10]
	flat_store_dwordx2 v[3:4], v[5:6]
	s_waitcnt vmcnt(0)
	flat_load_dwordx2 v[5:6], v[7:8] glc
	s_waitcnt vmcnt(0)
	flat_load_dwordx2 v[9:10], v[3:4] glc
	s_waitcnt vmcnt(0)
	v_add_u32_e32 v7, 32, v3
	s_waitcnt lgkmcnt(0)
	v_add_f64 v[5:6], v[5:6], v[9:10]
	;; [unrolled: 9-line block ×4, first 2 shown]
	flat_store_dwordx2 v[3:4], v[5:6]
	s_waitcnt vmcnt(0)
	flat_load_dwordx2 v[5:6], v[7:8] glc
	s_waitcnt vmcnt(0)
	flat_load_dwordx2 v[9:10], v[3:4] glc
	s_waitcnt vmcnt(0) lgkmcnt(0)
	v_add_f64 v[5:6], v[5:6], v[9:10]
	flat_store_dwordx2 v[3:4], v[5:6]
	s_waitcnt vmcnt(0)
	v_add_u32_e32 v3, 0x100, v1
	flat_load_dwordx2 v[5:6], v[3:4] glc
	s_waitcnt vmcnt(0)
	flat_load_dwordx2 v[7:8], v[1:2] glc
	s_waitcnt vmcnt(0)
	v_add_u32_e32 v3, 0x80, v1
	s_waitcnt lgkmcnt(0)
	v_add_f64 v[5:6], v[5:6], v[7:8]
	flat_store_dwordx2 v[1:2], v[5:6]
	s_waitcnt vmcnt(0)
	flat_load_dwordx2 v[5:6], v[3:4] glc
	s_waitcnt vmcnt(0)
	flat_load_dwordx2 v[7:8], v[1:2] glc
	s_waitcnt vmcnt(0)
	v_add_u32_e32 v3, 64, v1
	s_waitcnt lgkmcnt(0)
	v_add_f64 v[5:6], v[5:6], v[7:8]
	flat_store_dwordx2 v[1:2], v[5:6]
	s_waitcnt vmcnt(0)
	flat_load_dwordx2 v[5:6], v[3:4] glc
	s_waitcnt vmcnt(0)
	flat_load_dwordx2 v[7:8], v[1:2] glc
	s_waitcnt vmcnt(0)
	v_add_u32_e32 v3, 32, v1
	s_waitcnt lgkmcnt(0)
	v_add_f64 v[5:6], v[5:6], v[7:8]
	flat_store_dwordx2 v[1:2], v[5:6]
	s_waitcnt vmcnt(0)
	flat_load_dwordx2 v[5:6], v[3:4] glc
	s_waitcnt vmcnt(0)
	flat_load_dwordx2 v[7:8], v[1:2] glc
	s_waitcnt vmcnt(0)
	v_add_u32_e32 v3, 16, v1
	s_waitcnt lgkmcnt(0)
	v_add_f64 v[5:6], v[5:6], v[7:8]
	flat_store_dwordx2 v[1:2], v[5:6]
	s_waitcnt vmcnt(0)
	flat_load_dwordx2 v[5:6], v[3:4] glc
	s_waitcnt vmcnt(0)
	flat_load_dwordx2 v[7:8], v[1:2] glc
	s_waitcnt vmcnt(0)
	v_add_u32_e32 v3, 8, v1
	s_waitcnt lgkmcnt(0)
	v_add_f64 v[5:6], v[5:6], v[7:8]
	flat_store_dwordx2 v[1:2], v[5:6]
	s_waitcnt vmcnt(0)
	flat_load_dwordx2 v[5:6], v[3:4] glc
	s_waitcnt vmcnt(0)
	flat_load_dwordx2 v[7:8], v[1:2] glc
	s_waitcnt vmcnt(0) lgkmcnt(0)
	v_add_f64 v[3:4], v[5:6], v[7:8]
	flat_store_dwordx2 v[1:2], v[3:4]
	s_waitcnt vmcnt(0)
.LBB5_11:
	s_or_b64 exec, exec, s[0:1]
	s_mov_b32 s7, 0
	v_cmp_eq_u32_e32 vcc, 0, v0
	s_and_saveexec_b64 s[0:1], vcc
	s_cbranch_execz .LBB5_13
; %bb.12:
	s_load_dwordx4 s[0:3], s[4:5], 0x18
	v_mov_b32_e32 v4, 0
	s_lshl_b64 s[4:5], s[6:7], 3
	ds_read2st64_b64 v[0:3], v4 offset1:4
	s_waitcnt lgkmcnt(0)
	s_add_u32 s2, s2, s4
	s_addc_u32 s3, s3, s5
	s_add_u32 s0, s0, s4
	s_addc_u32 s1, s1, s5
	global_store_dwordx2 v4, v[2:3], s[0:1]
	global_store_dwordx2 v4, v[0:1], s[2:3]
.LBB5_13:
	s_endpgm
	.section	.rodata,"a",@progbits
	.p2align	6, 0x0
	.amdhsa_kernel _Z24gpu_find_inner_product_2iPKdS0_PdS1_
		.amdhsa_group_segment_fixed_size 4096
		.amdhsa_private_segment_fixed_size 0
		.amdhsa_kernarg_size 40
		.amdhsa_user_sgpr_count 6
		.amdhsa_user_sgpr_private_segment_buffer 1
		.amdhsa_user_sgpr_dispatch_ptr 0
		.amdhsa_user_sgpr_queue_ptr 0
		.amdhsa_user_sgpr_kernarg_segment_ptr 1
		.amdhsa_user_sgpr_dispatch_id 0
		.amdhsa_user_sgpr_flat_scratch_init 0
		.amdhsa_user_sgpr_private_segment_size 0
		.amdhsa_uses_dynamic_stack 0
		.amdhsa_system_sgpr_private_segment_wavefront_offset 0
		.amdhsa_system_sgpr_workgroup_id_x 1
		.amdhsa_system_sgpr_workgroup_id_y 0
		.amdhsa_system_sgpr_workgroup_id_z 0
		.amdhsa_system_sgpr_workgroup_info 0
		.amdhsa_system_vgpr_workitem_id 0
		.amdhsa_next_free_vgpr 29
		.amdhsa_next_free_sgpr 61
		.amdhsa_reserve_vcc 1
		.amdhsa_reserve_flat_scratch 0
		.amdhsa_float_round_mode_32 0
		.amdhsa_float_round_mode_16_64 0
		.amdhsa_float_denorm_mode_32 3
		.amdhsa_float_denorm_mode_16_64 3
		.amdhsa_dx10_clamp 1
		.amdhsa_ieee_mode 1
		.amdhsa_fp16_overflow 0
		.amdhsa_exception_fp_ieee_invalid_op 0
		.amdhsa_exception_fp_denorm_src 0
		.amdhsa_exception_fp_ieee_div_zero 0
		.amdhsa_exception_fp_ieee_overflow 0
		.amdhsa_exception_fp_ieee_underflow 0
		.amdhsa_exception_fp_ieee_inexact 0
		.amdhsa_exception_int_div_zero 0
	.end_amdhsa_kernel
	.text
.Lfunc_end5:
	.size	_Z24gpu_find_inner_product_2iPKdS0_PdS1_, .Lfunc_end5-_Z24gpu_find_inner_product_2iPKdS0_PdS1_
                                        ; -- End function
	.set _Z24gpu_find_inner_product_2iPKdS0_PdS1_.num_vgpr, 13
	.set _Z24gpu_find_inner_product_2iPKdS0_PdS1_.num_agpr, 0
	.set _Z24gpu_find_inner_product_2iPKdS0_PdS1_.numbered_sgpr, 12
	.set _Z24gpu_find_inner_product_2iPKdS0_PdS1_.num_named_barrier, 0
	.set _Z24gpu_find_inner_product_2iPKdS0_PdS1_.private_seg_size, 0
	.set _Z24gpu_find_inner_product_2iPKdS0_PdS1_.uses_vcc, 1
	.set _Z24gpu_find_inner_product_2iPKdS0_PdS1_.uses_flat_scratch, 0
	.set _Z24gpu_find_inner_product_2iPKdS0_PdS1_.has_dyn_sized_stack, 0
	.set _Z24gpu_find_inner_product_2iPKdS0_PdS1_.has_recursion, 0
	.set _Z24gpu_find_inner_product_2iPKdS0_PdS1_.has_indirect_call, 0
	.section	.AMDGPU.csdata,"",@progbits
; Kernel info:
; codeLenInByte = 1196
; TotalNumSgprs: 16
; NumVgprs: 13
; ScratchSize: 0
; MemoryBound: 1
; FloatMode: 240
; IeeeMode: 1
; LDSByteSize: 4096 bytes/workgroup (compile time only)
; SGPRBlocks: 8
; VGPRBlocks: 7
; NumSGPRsForWavesPerEU: 65
; NumVGPRsForWavesPerEU: 29
; Occupancy: 8
; WaveLimiterHint : 1
; COMPUTE_PGM_RSRC2:SCRATCH_EN: 0
; COMPUTE_PGM_RSRC2:USER_SGPR: 6
; COMPUTE_PGM_RSRC2:TRAP_HANDLER: 0
; COMPUTE_PGM_RSRC2:TGID_X_EN: 1
; COMPUTE_PGM_RSRC2:TGID_Y_EN: 0
; COMPUTE_PGM_RSRC2:TGID_Z_EN: 0
; COMPUTE_PGM_RSRC2:TIDIG_COMP_CNT: 0
	.section	.AMDGPU.gpr_maximums,"",@progbits
	.set amdgpu.max_num_vgpr, 0
	.set amdgpu.max_num_agpr, 0
	.set amdgpu.max_num_sgpr, 0
	.section	.AMDGPU.csdata,"",@progbits
	.type	__hip_cuid_393688145c7a6519,@object ; @__hip_cuid_393688145c7a6519
	.section	.bss,"aw",@nobits
	.globl	__hip_cuid_393688145c7a6519
__hip_cuid_393688145c7a6519:
	.byte	0                               ; 0x0
	.size	__hip_cuid_393688145c7a6519, 1

	.ident	"AMD clang version 22.0.0git (https://github.com/RadeonOpenCompute/llvm-project roc-7.2.4 26084 f58b06dce1f9c15707c5f808fd002e18c2accf7e)"
	.section	".note.GNU-stack","",@progbits
	.addrsig
	.addrsig_sym __hip_cuid_393688145c7a6519
	.amdgpu_metadata
---
amdhsa.kernels:
  - .args:
      - .offset:         0
        .size:           4
        .value_kind:     by_value
      - .actual_access:  write_only
        .address_space:  global
        .offset:         8
        .size:           8
        .value_kind:     global_buffer
      - .actual_access:  write_only
        .address_space:  global
        .offset:         16
        .size:           8
        .value_kind:     global_buffer
      - .offset:         24
        .size:           4
        .value_kind:     hidden_block_count_x
      - .offset:         28
        .size:           4
        .value_kind:     hidden_block_count_y
      - .offset:         32
        .size:           4
        .value_kind:     hidden_block_count_z
      - .offset:         36
        .size:           2
        .value_kind:     hidden_group_size_x
      - .offset:         38
        .size:           2
        .value_kind:     hidden_group_size_y
      - .offset:         40
        .size:           2
        .value_kind:     hidden_group_size_z
      - .offset:         42
        .size:           2
        .value_kind:     hidden_remainder_x
      - .offset:         44
        .size:           2
        .value_kind:     hidden_remainder_y
      - .offset:         46
        .size:           2
        .value_kind:     hidden_remainder_z
      - .offset:         64
        .size:           8
        .value_kind:     hidden_global_offset_x
      - .offset:         72
        .size:           8
        .value_kind:     hidden_global_offset_y
      - .offset:         80
        .size:           8
        .value_kind:     hidden_global_offset_z
      - .offset:         88
        .size:           2
        .value_kind:     hidden_grid_dims
    .group_segment_fixed_size: 0
    .kernarg_segment_align: 8
    .kernarg_segment_size: 280
    .language:       OpenCL C
    .language_version:
      - 2
      - 0
    .max_flat_workgroup_size: 1024
    .name:           _Z12gpu_set_zeroiPdS_
    .private_segment_fixed_size: 0
    .sgpr_count:     11
    .sgpr_spill_count: 0
    .symbol:         _Z12gpu_set_zeroiPdS_.kd
    .uniform_work_group_size: 1
    .uses_dynamic_stack: false
    .vgpr_count:     6
    .vgpr_spill_count: 0
    .wavefront_size: 64
  - .args:
      - .offset:         0
        .size:           4
        .value_kind:     by_value
      - .actual_access:  read_only
        .address_space:  global
        .offset:         8
        .size:           8
        .value_kind:     global_buffer
      - .actual_access:  read_only
        .address_space:  global
        .offset:         16
        .size:           8
        .value_kind:     global_buffer
      - .actual_access:  write_only
        .address_space:  global
        .offset:         24
        .size:           8
        .value_kind:     global_buffer
      - .actual_access:  write_only
        .address_space:  global
        .offset:         32
        .size:           8
        .value_kind:     global_buffer
      - .offset:         40
        .size:           4
        .value_kind:     hidden_block_count_x
      - .offset:         44
        .size:           4
        .value_kind:     hidden_block_count_y
      - .offset:         48
        .size:           4
        .value_kind:     hidden_block_count_z
      - .offset:         52
        .size:           2
        .value_kind:     hidden_group_size_x
      - .offset:         54
        .size:           2
        .value_kind:     hidden_group_size_y
      - .offset:         56
        .size:           2
        .value_kind:     hidden_group_size_z
      - .offset:         58
        .size:           2
        .value_kind:     hidden_remainder_x
      - .offset:         60
        .size:           2
        .value_kind:     hidden_remainder_y
      - .offset:         62
        .size:           2
        .value_kind:     hidden_remainder_z
      - .offset:         80
        .size:           8
        .value_kind:     hidden_global_offset_x
      - .offset:         88
        .size:           8
        .value_kind:     hidden_global_offset_y
      - .offset:         96
        .size:           8
        .value_kind:     hidden_global_offset_z
      - .offset:         104
        .size:           2
        .value_kind:     hidden_grid_dims
    .group_segment_fixed_size: 0
    .kernarg_segment_align: 8
    .kernarg_segment_size: 296
    .language:       OpenCL C
    .language_version:
      - 2
      - 0
    .max_flat_workgroup_size: 1024
    .name:           _Z14gpu_copy_stateiPKdS0_PdS1_
    .private_segment_fixed_size: 0
    .sgpr_count:     20
    .sgpr_spill_count: 0
    .symbol:         _Z14gpu_copy_stateiPKdS0_PdS1_.kd
    .uniform_work_group_size: 1
    .uses_dynamic_stack: false
    .vgpr_count:     10
    .vgpr_spill_count: 0
    .wavefront_size: 64
  - .args:
      - .offset:         0
        .size:           4
        .value_kind:     by_value
      - .actual_access:  read_only
        .address_space:  global
        .offset:         8
        .size:           8
        .value_kind:     global_buffer
      - .actual_access:  read_only
        .address_space:  global
        .offset:         16
        .size:           8
        .value_kind:     global_buffer
      - .address_space:  global
        .offset:         24
        .size:           8
        .value_kind:     global_buffer
      - .address_space:  global
        .offset:         32
        .size:           8
        .value_kind:     global_buffer
      - .offset:         40
        .size:           4
        .value_kind:     hidden_block_count_x
      - .offset:         44
        .size:           4
        .value_kind:     hidden_block_count_y
      - .offset:         48
        .size:           4
        .value_kind:     hidden_block_count_z
      - .offset:         52
        .size:           2
        .value_kind:     hidden_group_size_x
      - .offset:         54
        .size:           2
        .value_kind:     hidden_group_size_y
      - .offset:         56
        .size:           2
        .value_kind:     hidden_group_size_z
      - .offset:         58
        .size:           2
        .value_kind:     hidden_remainder_x
      - .offset:         60
        .size:           2
        .value_kind:     hidden_remainder_y
      - .offset:         62
        .size:           2
        .value_kind:     hidden_remainder_z
      - .offset:         80
        .size:           8
        .value_kind:     hidden_global_offset_x
      - .offset:         88
        .size:           8
        .value_kind:     hidden_global_offset_y
      - .offset:         96
        .size:           8
        .value_kind:     hidden_global_offset_z
      - .offset:         104
        .size:           2
        .value_kind:     hidden_grid_dims
    .group_segment_fixed_size: 0
    .kernarg_segment_align: 8
    .kernarg_segment_size: 296
    .language:       OpenCL C
    .language_version:
      - 2
      - 0
    .max_flat_workgroup_size: 1024
    .name:           _Z13gpu_add_stateiPKdS0_PdS1_
    .private_segment_fixed_size: 0
    .sgpr_count:     20
    .sgpr_spill_count: 0
    .symbol:         _Z13gpu_add_stateiPKdS0_PdS1_.kd
    .uniform_work_group_size: 1
    .uses_dynamic_stack: false
    .vgpr_count:     12
    .vgpr_spill_count: 0
    .wavefront_size: 64
  - .args:
      - .offset:         0
        .size:           4
        .value_kind:     by_value
      - .actual_access:  read_only
        .address_space:  global
        .offset:         8
        .size:           8
        .value_kind:     global_buffer
      - .actual_access:  read_only
        .address_space:  global
        .offset:         16
        .size:           8
        .value_kind:     global_buffer
      - .actual_access:  write_only
        .address_space:  global
        .offset:         24
        .size:           8
        .value_kind:     global_buffer
      - .actual_access:  write_only
        .address_space:  global
        .offset:         32
        .size:           8
        .value_kind:     global_buffer
      - .offset:         40
        .size:           4
        .value_kind:     hidden_block_count_x
      - .offset:         44
        .size:           4
        .value_kind:     hidden_block_count_y
      - .offset:         48
        .size:           4
        .value_kind:     hidden_block_count_z
      - .offset:         52
        .size:           2
        .value_kind:     hidden_group_size_x
      - .offset:         54
        .size:           2
        .value_kind:     hidden_group_size_y
      - .offset:         56
        .size:           2
        .value_kind:     hidden_group_size_z
      - .offset:         58
        .size:           2
        .value_kind:     hidden_remainder_x
      - .offset:         60
        .size:           2
        .value_kind:     hidden_remainder_y
      - .offset:         62
        .size:           2
        .value_kind:     hidden_remainder_z
      - .offset:         80
        .size:           8
        .value_kind:     hidden_global_offset_x
      - .offset:         88
        .size:           8
        .value_kind:     hidden_global_offset_y
      - .offset:         96
        .size:           8
        .value_kind:     hidden_global_offset_z
      - .offset:         104
        .size:           2
        .value_kind:     hidden_grid_dims
    .group_segment_fixed_size: 0
    .kernarg_segment_align: 8
    .kernarg_segment_size: 296
    .language:       OpenCL C
    .language_version:
      - 2
      - 0
    .max_flat_workgroup_size: 1024
    .name:           _Z12gpu_apply_sziPKdS0_PdS1_
    .private_segment_fixed_size: 0
    .sgpr_count:     20
    .sgpr_spill_count: 0
    .symbol:         _Z12gpu_apply_sziPKdS0_PdS1_.kd
    .uniform_work_group_size: 1
    .uses_dynamic_stack: false
    .vgpr_count:     8
    .vgpr_spill_count: 0
    .wavefront_size: 64
  - .args:
      - .offset:         0
        .size:           4
        .value_kind:     by_value
      - .actual_access:  read_only
        .address_space:  global
        .offset:         8
        .size:           8
        .value_kind:     global_buffer
      - .actual_access:  read_only
        .address_space:  global
        .offset:         16
        .size:           8
        .value_kind:     global_buffer
      - .actual_access:  read_only
        .address_space:  global
        .offset:         24
        .size:           8
        .value_kind:     global_buffer
      - .actual_access:  read_only
        .address_space:  global
        .offset:         32
        .size:           8
        .value_kind:     global_buffer
      - .actual_access:  write_only
        .address_space:  global
        .offset:         40
        .size:           8
        .value_kind:     global_buffer
      - .actual_access:  write_only
        .address_space:  global
        .offset:         48
        .size:           8
        .value_kind:     global_buffer
      - .offset:         56
        .size:           4
        .value_kind:     by_value
      - .offset:         64
        .size:           4
        .value_kind:     hidden_block_count_x
      - .offset:         68
        .size:           4
        .value_kind:     hidden_block_count_y
      - .offset:         72
        .size:           4
        .value_kind:     hidden_block_count_z
      - .offset:         76
        .size:           2
        .value_kind:     hidden_group_size_x
      - .offset:         78
        .size:           2
        .value_kind:     hidden_group_size_y
      - .offset:         80
        .size:           2
        .value_kind:     hidden_group_size_z
      - .offset:         82
        .size:           2
        .value_kind:     hidden_remainder_x
      - .offset:         84
        .size:           2
        .value_kind:     hidden_remainder_y
      - .offset:         86
        .size:           2
        .value_kind:     hidden_remainder_z
      - .offset:         104
        .size:           8
        .value_kind:     hidden_global_offset_x
      - .offset:         112
        .size:           8
        .value_kind:     hidden_global_offset_y
      - .offset:         120
        .size:           8
        .value_kind:     hidden_global_offset_z
      - .offset:         128
        .size:           2
        .value_kind:     hidden_grid_dims
    .group_segment_fixed_size: 4096
    .kernarg_segment_align: 8
    .kernarg_segment_size: 320
    .language:       OpenCL C
    .language_version:
      - 2
      - 0
    .max_flat_workgroup_size: 1024
    .name:           _Z24gpu_find_inner_product_1iPKdS0_S0_S0_PdS1_i
    .private_segment_fixed_size: 0
    .sgpr_count:     20
    .sgpr_spill_count: 0
    .symbol:         _Z24gpu_find_inner_product_1iPKdS0_S0_S0_PdS1_i.kd
    .uniform_work_group_size: 1
    .uses_dynamic_stack: false
    .vgpr_count:     16
    .vgpr_spill_count: 0
    .wavefront_size: 64
  - .args:
      - .offset:         0
        .size:           4
        .value_kind:     by_value
      - .actual_access:  read_only
        .address_space:  global
        .offset:         8
        .size:           8
        .value_kind:     global_buffer
      - .actual_access:  read_only
        .address_space:  global
        .offset:         16
        .size:           8
        .value_kind:     global_buffer
      - .actual_access:  write_only
        .address_space:  global
        .offset:         24
        .size:           8
        .value_kind:     global_buffer
      - .actual_access:  write_only
        .address_space:  global
        .offset:         32
        .size:           8
        .value_kind:     global_buffer
    .group_segment_fixed_size: 4096
    .kernarg_segment_align: 8
    .kernarg_segment_size: 40
    .language:       OpenCL C
    .language_version:
      - 2
      - 0
    .max_flat_workgroup_size: 1024
    .name:           _Z24gpu_find_inner_product_2iPKdS0_PdS1_
    .private_segment_fixed_size: 0
    .sgpr_count:     16
    .sgpr_spill_count: 0
    .symbol:         _Z24gpu_find_inner_product_2iPKdS0_PdS1_.kd
    .uniform_work_group_size: 1
    .uses_dynamic_stack: false
    .vgpr_count:     13
    .vgpr_spill_count: 0
    .wavefront_size: 64
amdhsa.target:   amdgcn-amd-amdhsa--gfx906
amdhsa.version:
  - 1
  - 2
...

	.end_amdgpu_metadata
